;; amdgpu-corpus repo=zjin-lcf/HeCBench kind=compiled arch=gfx906 opt=O3
	.amdgcn_target "amdgcn-amd-amdhsa--gfx906"
	.amdhsa_code_object_version 6
	.text
	.protected	_Z24ldpc_cnp_kernel_1st_iterPKfPfS1_PKcPK9h_element ; -- Begin function _Z24ldpc_cnp_kernel_1st_iterPKfPfS1_PKcPK9h_element
	.globl	_Z24ldpc_cnp_kernel_1st_iterPKfPfS1_PKcPK9h_element
	.p2align	8
	.type	_Z24ldpc_cnp_kernel_1st_iterPKfPfS1_PKcPK9h_element,@function
_Z24ldpc_cnp_kernel_1st_iterPKfPfS1_PKcPK9h_element: ; @_Z24ldpc_cnp_kernel_1st_iterPKfPfS1_PKcPK9h_element
; %bb.0:
	s_load_dwordx8 s[8:15], s[4:5], 0x0
	s_mov_b32 s0, s7
	s_ashr_i32 s7, s6, 31
	v_mov_b32_e32 v4, 0
	v_mov_b32_e32 v3, 1
	s_waitcnt lgkmcnt(0)
	s_add_u32 s2, s14, s6
	s_addc_u32 s3, s15, s7
	global_load_sbyte v2, v4, s[2:3]
	s_waitcnt vmcnt(0)
	v_cmp_lt_i32_sdwa s[2:3], sext(v2), v3 src0_sel:WORD_0 src1_sel:DWORD
	s_and_b64 vcc, exec, s[2:3]
	v_readfirstlane_b32 s1, v2
	s_cbranch_vccnz .LBB0_12
; %bb.1:
	s_load_dwordx2 s[2:3], s[4:5], 0x20
	v_lshl_add_u32 v5, s0, 1, v1
	s_movk_i32 s0, 0x900
	s_sext_i32_i16 s16, s1
	v_mul_lo_u32 v7, v5, s0
	s_lshl_b64 s[0:1], s[6:7], 2
	s_waitcnt lgkmcnt(0)
	s_add_u32 s0, s2, s0
	s_addc_u32 s1, s3, s1
	s_add_u32 s0, s0, 1
	s_addc_u32 s1, s1, 0
	v_mov_b32_e32 v6, 1.0
	v_mov_b32_e32 v1, 0x447a0000
	s_mov_b32 s7, 0
	s_movk_i32 s17, 0x5f
	s_movk_i32 s18, 0x60
	v_mov_b32_e32 v9, s9
	s_mov_b64 s[2:3], s[0:1]
	v_mov_b32_e32 v2, 0
	v_mov_b32_e32 v3, 0
	;; [unrolled: 1-line block ×3, first 2 shown]
.LBB0_2:                                ; =>This Inner Loop Header: Depth=1
	global_load_ushort v8, v4, s[2:3]
	s_waitcnt vmcnt(0)
	v_bfe_i32 v11, v8, 0, 8
	v_mul_lo_u32 v11, v11, s18
	v_add_u32_sdwa v8, v0, sext(v8) dst_sel:DWORD dst_unused:UNUSED_PAD src0_sel:DWORD src1_sel:BYTE_1
	v_add_u32_e32 v12, 0xffffffa0, v8
	v_cmp_lt_i32_e32 vcc, s17, v8
	v_cndmask_b32_e32 v8, v8, v12, vcc
	v_add3_u32 v11, v11, v7, v8
	v_ashrrev_i32_e32 v12, 31, v11
	v_lshlrev_b64 v[11:12], 2, v[11:12]
	v_add_co_u32_e32 v11, vcc, s8, v11
	v_addc_co_u32_e32 v12, vcc, v9, v12, vcc
	global_load_dword v11, v[11:12], off
	s_waitcnt vmcnt(0)
	v_and_b32_e32 v12, 0x7fffffff, v11
	v_cmp_nlt_f32_e64 s[4:5], |v11|, v10
	s_and_saveexec_b64 s[14:15], s[4:5]
	s_xor_b64 s[4:5], exec, s[14:15]
	s_cbranch_execz .LBB0_6
; %bb.3:                                ;   in Loop: Header=BB0_2 Depth=1
	v_cmp_lt_f32_e64 s[20:21], |v11|, v1
	s_and_saveexec_b64 s[14:15], s[20:21]
; %bb.4:                                ;   in Loop: Header=BB0_2 Depth=1
	v_mov_b32_e32 v1, v12
; %bb.5:                                ;   in Loop: Header=BB0_2 Depth=1
	s_or_b64 exec, exec, s[14:15]
                                        ; implicit-def: $vgpr12
.LBB0_6:                                ;   in Loop: Header=BB0_2 Depth=1
	s_or_saveexec_b64 s[4:5], s[4:5]
	v_mov_b32_e32 v8, v10
	s_xor_b64 exec, exec, s[4:5]
; %bb.7:                                ;   in Loop: Header=BB0_2 Depth=1
	v_mov_b32_e32 v3, s7
	v_mov_b32_e32 v8, v12
	v_mov_b32_e32 v1, v10
; %bb.8:                                ;   in Loop: Header=BB0_2 Depth=1
	s_or_b64 exec, exec, s[4:5]
	v_cmp_gt_f32_e32 vcc, 0, v11
	v_cndmask_b32_e64 v10, 0, 1, vcc
	v_lshlrev_b32_e32 v10, s7, v10
	s_add_i32 s7, s7, 1
	s_add_u32 s2, s2, 48
	s_addc_u32 s3, s3, 0
	v_cndmask_b32_e64 v6, v6, -v6, vcc
	s_cmp_eq_u32 s16, s7
	v_or_b32_e32 v2, v2, v10
	s_cbranch_scc1 .LBB0_10
; %bb.9:                                ;   in Loop: Header=BB0_2 Depth=1
	v_mov_b32_e32 v10, v8
	s_branch .LBB0_2
.LBB0_10:
	s_movk_i32 s2, 0x6c00
	v_mul_lo_u32 v5, v5, s2
	s_mul_i32 s3, s6, 0x60
	v_mul_f32_e32 v4, 0x3f400000, v6
	s_mov_b32 s2, 0
	v_add3_u32 v0, s3, v0, v5
	v_mov_b32_e32 v5, 0
	s_movk_i32 s3, 0x480
	v_mov_b32_e32 v6, s11
	v_mov_b32_e32 v7, s13
.LBB0_11:                               ; =>This Inner Loop Header: Depth=1
	global_load_sbyte v9, v5, s[0:1]
	v_lshrrev_b32_sdwa v10, s2, sext(v2) dst_sel:DWORD dst_unused:UNUSED_PAD src0_sel:DWORD src1_sel:BYTE_0
	v_lshlrev_b16_e32 v10, 1, v10
	v_and_b32_e32 v10, 2, v10
	v_sub_u16_e32 v10, 1, v10
	v_cvt_f32_i32_sdwa v10, sext(v10) dst_sel:DWORD dst_unused:UNUSED_PAD src0_sel:WORD_0
	v_cmp_eq_u32_sdwa vcc, sext(v3), s2 src0_sel:BYTE_0 src1_sel:DWORD
	v_cndmask_b32_e32 v11, v8, v1, vcc
	s_add_i32 s2, s2, 1
	v_mul_f32_e32 v10, v4, v10
	v_mul_f32_e32 v13, v11, v10
	s_add_u32 s0, s0, 48
	s_addc_u32 s1, s1, 0
	s_cmp_eq_u32 s16, s2
	s_waitcnt vmcnt(0)
	v_mul_lo_u32 v9, v9, s3
	v_add_u32_e32 v9, v0, v9
	v_ashrrev_i32_e32 v10, 31, v9
	v_lshlrev_b64 v[9:10], 2, v[9:10]
	v_add_co_u32_e32 v11, vcc, s10, v9
	v_addc_co_u32_e32 v12, vcc, v6, v10, vcc
	v_add_co_u32_e32 v9, vcc, s12, v9
	v_addc_co_u32_e32 v10, vcc, v7, v10, vcc
	global_store_dword v[11:12], v13, off
	global_store_dword v[9:10], v13, off
	s_cbranch_scc0 .LBB0_11
.LBB0_12:
	s_endpgm
	.section	.rodata,"a",@progbits
	.p2align	6, 0x0
	.amdhsa_kernel _Z24ldpc_cnp_kernel_1st_iterPKfPfS1_PKcPK9h_element
		.amdhsa_group_segment_fixed_size 0
		.amdhsa_private_segment_fixed_size 0
		.amdhsa_kernarg_size 40
		.amdhsa_user_sgpr_count 6
		.amdhsa_user_sgpr_private_segment_buffer 1
		.amdhsa_user_sgpr_dispatch_ptr 0
		.amdhsa_user_sgpr_queue_ptr 0
		.amdhsa_user_sgpr_kernarg_segment_ptr 1
		.amdhsa_user_sgpr_dispatch_id 0
		.amdhsa_user_sgpr_flat_scratch_init 0
		.amdhsa_user_sgpr_private_segment_size 0
		.amdhsa_uses_dynamic_stack 0
		.amdhsa_system_sgpr_private_segment_wavefront_offset 0
		.amdhsa_system_sgpr_workgroup_id_x 1
		.amdhsa_system_sgpr_workgroup_id_y 1
		.amdhsa_system_sgpr_workgroup_id_z 0
		.amdhsa_system_sgpr_workgroup_info 0
		.amdhsa_system_vgpr_workitem_id 1
		.amdhsa_next_free_vgpr 14
		.amdhsa_next_free_sgpr 22
		.amdhsa_reserve_vcc 1
		.amdhsa_reserve_flat_scratch 0
		.amdhsa_float_round_mode_32 0
		.amdhsa_float_round_mode_16_64 0
		.amdhsa_float_denorm_mode_32 3
		.amdhsa_float_denorm_mode_16_64 3
		.amdhsa_dx10_clamp 1
		.amdhsa_ieee_mode 1
		.amdhsa_fp16_overflow 0
		.amdhsa_exception_fp_ieee_invalid_op 0
		.amdhsa_exception_fp_denorm_src 0
		.amdhsa_exception_fp_ieee_div_zero 0
		.amdhsa_exception_fp_ieee_overflow 0
		.amdhsa_exception_fp_ieee_underflow 0
		.amdhsa_exception_fp_ieee_inexact 0
		.amdhsa_exception_int_div_zero 0
	.end_amdhsa_kernel
	.text
.Lfunc_end0:
	.size	_Z24ldpc_cnp_kernel_1st_iterPKfPfS1_PKcPK9h_element, .Lfunc_end0-_Z24ldpc_cnp_kernel_1st_iterPKfPfS1_PKcPK9h_element
                                        ; -- End function
	.set _Z24ldpc_cnp_kernel_1st_iterPKfPfS1_PKcPK9h_element.num_vgpr, 14
	.set _Z24ldpc_cnp_kernel_1st_iterPKfPfS1_PKcPK9h_element.num_agpr, 0
	.set _Z24ldpc_cnp_kernel_1st_iterPKfPfS1_PKcPK9h_element.numbered_sgpr, 22
	.set _Z24ldpc_cnp_kernel_1st_iterPKfPfS1_PKcPK9h_element.num_named_barrier, 0
	.set _Z24ldpc_cnp_kernel_1st_iterPKfPfS1_PKcPK9h_element.private_seg_size, 0
	.set _Z24ldpc_cnp_kernel_1st_iterPKfPfS1_PKcPK9h_element.uses_vcc, 1
	.set _Z24ldpc_cnp_kernel_1st_iterPKfPfS1_PKcPK9h_element.uses_flat_scratch, 0
	.set _Z24ldpc_cnp_kernel_1st_iterPKfPfS1_PKcPK9h_element.has_dyn_sized_stack, 0
	.set _Z24ldpc_cnp_kernel_1st_iterPKfPfS1_PKcPK9h_element.has_recursion, 0
	.set _Z24ldpc_cnp_kernel_1st_iterPKfPfS1_PKcPK9h_element.has_indirect_call, 0
	.section	.AMDGPU.csdata,"",@progbits
; Kernel info:
; codeLenInByte = 592
; TotalNumSgprs: 26
; NumVgprs: 14
; ScratchSize: 0
; MemoryBound: 0
; FloatMode: 240
; IeeeMode: 1
; LDSByteSize: 0 bytes/workgroup (compile time only)
; SGPRBlocks: 3
; VGPRBlocks: 3
; NumSGPRsForWavesPerEU: 26
; NumVGPRsForWavesPerEU: 14
; Occupancy: 10
; WaveLimiterHint : 1
; COMPUTE_PGM_RSRC2:SCRATCH_EN: 0
; COMPUTE_PGM_RSRC2:USER_SGPR: 6
; COMPUTE_PGM_RSRC2:TRAP_HANDLER: 0
; COMPUTE_PGM_RSRC2:TGID_X_EN: 1
; COMPUTE_PGM_RSRC2:TGID_Y_EN: 1
; COMPUTE_PGM_RSRC2:TGID_Z_EN: 0
; COMPUTE_PGM_RSRC2:TIDIG_COMP_CNT: 1
	.text
	.protected	_Z15ldpc_cnp_kernelPKfPfS1_PKcPK9h_element ; -- Begin function _Z15ldpc_cnp_kernelPKfPfS1_PKcPK9h_element
	.globl	_Z15ldpc_cnp_kernelPKfPfS1_PKcPK9h_element
	.p2align	8
	.type	_Z15ldpc_cnp_kernelPKfPfS1_PKcPK9h_element,@function
_Z15ldpc_cnp_kernelPKfPfS1_PKcPK9h_element: ; @_Z15ldpc_cnp_kernelPKfPfS1_PKcPK9h_element
; %bb.0:
	s_load_dword s1, s[4:5], 0x34
	s_load_dwordx8 s[8:15], s[4:5], 0x0
	s_mov_b32 s0, s7
	s_ashr_i32 s7, s6, 31
	v_mov_b32_e32 v4, 0
	s_waitcnt lgkmcnt(0)
	s_and_b32 s1, s1, 0xffff
	s_add_u32 s2, s14, s6
	s_addc_u32 s3, s15, s7
	global_load_sbyte v5, v4, s[2:3]
	s_load_dwordx2 s[2:3], s[4:5], 0x20
	s_movk_i32 s4, 0x6c00
	v_lshl_add_u32 v3, s0, 1, v1
	v_mul_lo_u32 v2, v3, s4
	s_mul_i32 s0, s6, 0x60
	v_mul_u32_u24_e32 v1, s1, v1
	v_lshlrev_b32_e32 v1, 2, v1
	v_add3_u32 v2, s0, v0, v2
	s_mov_b32 s19, 0
	s_movk_i32 s20, 0x60
	s_waitcnt vmcnt(0)
	v_cmp_lt_i32_e64 s[0:1], 0, v5
	v_cmp_gt_i32_e32 vcc, 1, v5
	v_readfirstlane_b32 s18, v5
	v_lshlrev_b32_e32 v5, 2, v0
	v_add3_u32 v1, 0, v1, v5
	s_cbranch_vccnz .LBB1_11
; %bb.1:
	s_movk_i32 s4, 0x900
	v_mul_lo_u32 v6, v3, s4
	s_lshl_b64 s[4:5], s[6:7], 2
	s_waitcnt lgkmcnt(0)
	s_add_u32 s4, s2, s4
	s_addc_u32 s5, s3, s5
	s_add_u32 s4, s4, 1
	s_addc_u32 s5, s5, 0
	v_mov_b32_e32 v7, 1.0
	v_mov_b32_e32 v3, 0x447a0000
	s_movk_i32 s21, 0x5f
	s_movk_i32 s22, 0x480
	v_mov_b32_e32 v8, s13
	v_mov_b32_e32 v9, s9
	;; [unrolled: 1-line block ×6, first 2 shown]
.LBB1_2:                                ; =>This Inner Loop Header: Depth=1
	global_load_ushort v5, v4, s[4:5]
	s_waitcnt vmcnt(0)
	v_bfe_i32 v14, v5, 0, 8
	v_mul_lo_u32 v16, v14, s22
	v_mul_lo_u32 v17, v14, s20
	v_add_u32_sdwa v5, v0, sext(v5) dst_sel:DWORD dst_unused:UNUSED_PAD src0_sel:DWORD src1_sel:BYTE_1
	v_add_u32_e32 v15, 0xffffffa0, v5
	v_cmp_lt_i32_e32 vcc, s21, v5
	v_add_u32_e32 v14, v16, v2
	v_cndmask_b32_e32 v5, v5, v15, vcc
	v_ashrrev_i32_e32 v15, 31, v14
	v_add3_u32 v16, v17, v6, v5
	v_lshlrev_b64 v[14:15], 2, v[14:15]
	v_ashrrev_i32_e32 v17, 31, v16
	v_lshlrev_b64 v[16:17], 2, v[16:17]
	v_add_co_u32_e32 v14, vcc, s12, v14
	v_addc_co_u32_e32 v15, vcc, v8, v15, vcc
	v_add_co_u32_e32 v16, vcc, s8, v16
	v_addc_co_u32_e32 v17, vcc, v9, v17, vcc
	global_load_dword v5, v[14:15], off
	global_load_dword v18, v[16:17], off
	s_waitcnt vmcnt(1)
	ds_write_b32 v10, v5
	s_waitcnt vmcnt(0)
	v_sub_f32_e32 v14, v18, v5
	v_and_b32_e32 v15, 0x7fffffff, v14
	v_cmp_nlt_f32_e64 s[14:15], |v14|, v13
	s_and_saveexec_b64 s[16:17], s[14:15]
	s_xor_b64 s[14:15], exec, s[16:17]
	s_cbranch_execz .LBB1_6
; %bb.3:                                ;   in Loop: Header=BB1_2 Depth=1
	v_cmp_lt_f32_e64 s[24:25], |v14|, v3
	s_and_saveexec_b64 s[16:17], s[24:25]
; %bb.4:                                ;   in Loop: Header=BB1_2 Depth=1
	v_mov_b32_e32 v3, v15
; %bb.5:                                ;   in Loop: Header=BB1_2 Depth=1
	s_or_b64 exec, exec, s[16:17]
                                        ; implicit-def: $vgpr15
.LBB1_6:                                ;   in Loop: Header=BB1_2 Depth=1
	s_or_saveexec_b64 s[14:15], s[14:15]
	v_mov_b32_e32 v5, v13
	s_xor_b64 exec, exec, s[14:15]
; %bb.7:                                ;   in Loop: Header=BB1_2 Depth=1
	v_mov_b32_e32 v12, s19
	v_mov_b32_e32 v5, v15
	v_mov_b32_e32 v3, v13
; %bb.8:                                ;   in Loop: Header=BB1_2 Depth=1
	s_or_b64 exec, exec, s[14:15]
	v_cmp_gt_f32_e32 vcc, 0, v14
	v_cndmask_b32_e64 v13, 0, 1, vcc
	v_lshlrev_b32_e32 v13, s19, v13
	s_add_i32 s19, s19, 1
	s_add_u32 s4, s4, 48
	s_addc_u32 s5, s5, 0
	v_cndmask_b32_e64 v7, v7, -v7, vcc
	v_or_b32_e32 v11, v11, v13
	s_cmp_eq_u32 s18, s19
	v_add_u32_e32 v10, 0x300, v10
	s_cbranch_scc1 .LBB1_10
; %bb.9:                                ;   in Loop: Header=BB1_2 Depth=1
	v_mov_b32_e32 v13, v5
	s_branch .LBB1_2
.LBB1_10:
	v_bfe_i32 v4, v11, 0, 8
	v_mul_f32_e32 v0, 0x3f400000, v7
	v_bfe_i32 v6, v12, 0, 8
	s_branch .LBB1_12
.LBB1_11:
	v_mov_b32_e32 v0, 0x3f400000
	v_mov_b32_e32 v3, 0x447a0000
	;; [unrolled: 1-line block ×5, first 2 shown]
.LBB1_12:
	s_andn2_b64 vcc, exec, s[0:1]
	s_waitcnt lgkmcnt(0)
	s_barrier
	s_cbranch_vccnz .LBB1_15
; %bb.13:
	s_lshl_b64 s[0:1], s[6:7], 2
	s_add_u32 s0, s2, s0
	s_addc_u32 s1, s3, s1
	s_add_u32 s0, s0, 1
	s_addc_u32 s1, s1, 0
	s_mov_b32 s2, 0
	v_mov_b32_e32 v7, 0
	s_movk_i32 s3, 0x480
	v_mov_b32_e32 v8, s11
	v_mov_b32_e32 v9, s13
.LBB1_14:                               ; =>This Inner Loop Header: Depth=1
	global_load_sbyte v10, v7, s[0:1]
	v_lshrrev_b32_e32 v11, s2, v4
	v_lshlrev_b16_e32 v11, 1, v11
	v_and_b32_e32 v11, 2, v11
	v_sub_u16_e32 v11, 1, v11
	ds_read_b32 v13, v1
	v_cvt_f32_i32_sdwa v11, sext(v11) dst_sel:DWORD dst_unused:UNUSED_PAD src0_sel:WORD_0
	v_cmp_eq_u32_e32 vcc, s2, v6
	v_cndmask_b32_e32 v12, v5, v3, vcc
	s_add_i32 s2, s2, 1
	v_mul_f32_e32 v11, v0, v11
	v_mul_f32_e32 v14, v12, v11
	s_waitcnt lgkmcnt(0)
	v_fma_f32 v15, v12, v11, -v13
	s_add_u32 s0, s0, 48
	s_addc_u32 s1, s1, 0
	v_add_u32_e32 v1, 0x300, v1
	s_cmp_eq_u32 s18, s2
	s_waitcnt vmcnt(0)
	v_mul_lo_u32 v10, v10, s3
	v_add_u32_e32 v10, v10, v2
	v_ashrrev_i32_e32 v11, 31, v10
	v_lshlrev_b64 v[10:11], 2, v[10:11]
	v_add_co_u32_e32 v12, vcc, s10, v10
	v_addc_co_u32_e32 v13, vcc, v8, v11, vcc
	v_add_co_u32_e32 v10, vcc, s12, v10
	v_addc_co_u32_e32 v11, vcc, v9, v11, vcc
	global_store_dword v[12:13], v15, off
	global_store_dword v[10:11], v14, off
	s_cbranch_scc0 .LBB1_14
.LBB1_15:
	s_endpgm
	.section	.rodata,"a",@progbits
	.p2align	6, 0x0
	.amdhsa_kernel _Z15ldpc_cnp_kernelPKfPfS1_PKcPK9h_element
		.amdhsa_group_segment_fixed_size 0
		.amdhsa_private_segment_fixed_size 0
		.amdhsa_kernarg_size 296
		.amdhsa_user_sgpr_count 6
		.amdhsa_user_sgpr_private_segment_buffer 1
		.amdhsa_user_sgpr_dispatch_ptr 0
		.amdhsa_user_sgpr_queue_ptr 0
		.amdhsa_user_sgpr_kernarg_segment_ptr 1
		.amdhsa_user_sgpr_dispatch_id 0
		.amdhsa_user_sgpr_flat_scratch_init 0
		.amdhsa_user_sgpr_private_segment_size 0
		.amdhsa_uses_dynamic_stack 0
		.amdhsa_system_sgpr_private_segment_wavefront_offset 0
		.amdhsa_system_sgpr_workgroup_id_x 1
		.amdhsa_system_sgpr_workgroup_id_y 1
		.amdhsa_system_sgpr_workgroup_id_z 0
		.amdhsa_system_sgpr_workgroup_info 0
		.amdhsa_system_vgpr_workitem_id 1
		.amdhsa_next_free_vgpr 19
		.amdhsa_next_free_sgpr 26
		.amdhsa_reserve_vcc 1
		.amdhsa_reserve_flat_scratch 0
		.amdhsa_float_round_mode_32 0
		.amdhsa_float_round_mode_16_64 0
		.amdhsa_float_denorm_mode_32 3
		.amdhsa_float_denorm_mode_16_64 3
		.amdhsa_dx10_clamp 1
		.amdhsa_ieee_mode 1
		.amdhsa_fp16_overflow 0
		.amdhsa_exception_fp_ieee_invalid_op 0
		.amdhsa_exception_fp_denorm_src 0
		.amdhsa_exception_fp_ieee_div_zero 0
		.amdhsa_exception_fp_ieee_overflow 0
		.amdhsa_exception_fp_ieee_underflow 0
		.amdhsa_exception_fp_ieee_inexact 0
		.amdhsa_exception_int_div_zero 0
	.end_amdhsa_kernel
	.text
.Lfunc_end1:
	.size	_Z15ldpc_cnp_kernelPKfPfS1_PKcPK9h_element, .Lfunc_end1-_Z15ldpc_cnp_kernelPKfPfS1_PKcPK9h_element
                                        ; -- End function
	.set _Z15ldpc_cnp_kernelPKfPfS1_PKcPK9h_element.num_vgpr, 19
	.set _Z15ldpc_cnp_kernelPKfPfS1_PKcPK9h_element.num_agpr, 0
	.set _Z15ldpc_cnp_kernelPKfPfS1_PKcPK9h_element.numbered_sgpr, 26
	.set _Z15ldpc_cnp_kernelPKfPfS1_PKcPK9h_element.num_named_barrier, 0
	.set _Z15ldpc_cnp_kernelPKfPfS1_PKcPK9h_element.private_seg_size, 0
	.set _Z15ldpc_cnp_kernelPKfPfS1_PKcPK9h_element.uses_vcc, 1
	.set _Z15ldpc_cnp_kernelPKfPfS1_PKcPK9h_element.uses_flat_scratch, 0
	.set _Z15ldpc_cnp_kernelPKfPfS1_PKcPK9h_element.has_dyn_sized_stack, 0
	.set _Z15ldpc_cnp_kernelPKfPfS1_PKcPK9h_element.has_recursion, 0
	.set _Z15ldpc_cnp_kernelPKfPfS1_PKcPK9h_element.has_indirect_call, 0
	.section	.AMDGPU.csdata,"",@progbits
; Kernel info:
; codeLenInByte = 800
; TotalNumSgprs: 30
; NumVgprs: 19
; ScratchSize: 0
; MemoryBound: 0
; FloatMode: 240
; IeeeMode: 1
; LDSByteSize: 0 bytes/workgroup (compile time only)
; SGPRBlocks: 3
; VGPRBlocks: 4
; NumSGPRsForWavesPerEU: 30
; NumVGPRsForWavesPerEU: 19
; Occupancy: 10
; WaveLimiterHint : 1
; COMPUTE_PGM_RSRC2:SCRATCH_EN: 0
; COMPUTE_PGM_RSRC2:USER_SGPR: 6
; COMPUTE_PGM_RSRC2:TRAP_HANDLER: 0
; COMPUTE_PGM_RSRC2:TGID_X_EN: 1
; COMPUTE_PGM_RSRC2:TGID_Y_EN: 1
; COMPUTE_PGM_RSRC2:TGID_Z_EN: 0
; COMPUTE_PGM_RSRC2:TIDIG_COMP_CNT: 1
	.text
	.protected	_Z22ldpc_vnp_kernel_normalPfS_PKcPK9h_element ; -- Begin function _Z22ldpc_vnp_kernel_normalPfS_PKcPK9h_element
	.globl	_Z22ldpc_vnp_kernel_normalPfS_PKcPK9h_element
	.p2align	8
	.type	_Z22ldpc_vnp_kernel_normalPfS_PKcPK9h_element,@function
_Z22ldpc_vnp_kernel_normalPfS_PKcPK9h_element: ; @_Z22ldpc_vnp_kernel_normalPfS_PKcPK9h_element
; %bb.0:
	v_lshl_add_u32 v5, s7, 1, v1
	s_movk_i32 s0, 0x900
	v_mul_lo_u32 v1, v5, s0
	s_load_dwordx8 s[8:15], s[4:5], 0x0
	s_mul_i32 s0, s6, 0x60
	s_ashr_i32 s7, s6, 31
	v_add3_u32 v1, s0, v0, v1
	v_ashrrev_i32_e32 v2, 31, v1
	v_lshlrev_b64 v[1:2], 2, v[1:2]
	s_waitcnt lgkmcnt(0)
	s_add_u32 s0, s12, s6
	s_addc_u32 s1, s13, s7
	v_mov_b32_e32 v4, 0
	v_mov_b32_e32 v3, s9
	global_load_sbyte v6, v4, s[0:1]
	v_add_co_u32_e32 v1, vcc, s8, v1
	v_addc_co_u32_e32 v2, vcc, v3, v2, vcc
	global_load_dword v3, v[1:2], off
	v_mov_b32_e32 v7, 1
	s_movk_i32 s2, 0x60
	s_waitcnt vmcnt(1)
	v_cmp_lt_i32_sdwa s[0:1], sext(v6), v7 src0_sel:WORD_0 src1_sel:DWORD
	s_and_b64 vcc, exec, s[0:1]
	v_readfirstlane_b32 s0, v6
	s_cbranch_vccnz .LBB2_3
; %bb.1:
	s_movk_i32 s1, 0x6c00
	v_mul_lo_u32 v5, v5, s1
	s_sext_i32_i16 s3, s0
	s_lshl_b64 s[0:1], s[6:7], 2
	s_add_u32 s0, s14, s0
	s_addc_u32 s1, s15, s1
	s_mul_i32 s4, s6, 0x480
	s_add_u32 s0, s0, 2
	v_add_u32_e32 v5, s4, v5
	s_addc_u32 s1, s1, 0
	v_mov_b32_e32 v6, s11
.LBB2_2:                                ; =>This Inner Loop Header: Depth=1
	global_load_sbyte v7, v4, s[0:1] offset:-2
	global_load_sbyte v8, v4, s[0:1]
	s_add_i32 s3, s3, -1
	s_add_u32 s0, s0, 0x60
	s_addc_u32 s1, s1, 0
	s_cmp_eq_u32 s3, 0
	s_waitcnt vmcnt(1)
	v_mul_lo_u32 v7, v7, s2
	s_waitcnt vmcnt(0)
	v_sub_u32_e32 v8, v0, v8
	v_add_u32_e32 v9, 0x60, v8
	v_cmp_gt_i32_e32 vcc, 0, v8
	v_cndmask_b32_e32 v8, v8, v9, vcc
	v_add3_u32 v7, v5, v7, v8
	v_ashrrev_i32_e32 v8, 31, v7
	v_lshlrev_b64 v[7:8], 2, v[7:8]
	v_add_co_u32_e32 v7, vcc, s10, v7
	v_addc_co_u32_e32 v8, vcc, v6, v8, vcc
	global_load_dword v7, v[7:8], off
	s_waitcnt vmcnt(0)
	v_add_f32_e32 v3, v3, v7
	s_cbranch_scc0 .LBB2_2
.LBB2_3:
	s_waitcnt vmcnt(0)
	global_store_dword v[1:2], v3, off
	s_endpgm
	.section	.rodata,"a",@progbits
	.p2align	6, 0x0
	.amdhsa_kernel _Z22ldpc_vnp_kernel_normalPfS_PKcPK9h_element
		.amdhsa_group_segment_fixed_size 0
		.amdhsa_private_segment_fixed_size 0
		.amdhsa_kernarg_size 32
		.amdhsa_user_sgpr_count 6
		.amdhsa_user_sgpr_private_segment_buffer 1
		.amdhsa_user_sgpr_dispatch_ptr 0
		.amdhsa_user_sgpr_queue_ptr 0
		.amdhsa_user_sgpr_kernarg_segment_ptr 1
		.amdhsa_user_sgpr_dispatch_id 0
		.amdhsa_user_sgpr_flat_scratch_init 0
		.amdhsa_user_sgpr_private_segment_size 0
		.amdhsa_uses_dynamic_stack 0
		.amdhsa_system_sgpr_private_segment_wavefront_offset 0
		.amdhsa_system_sgpr_workgroup_id_x 1
		.amdhsa_system_sgpr_workgroup_id_y 1
		.amdhsa_system_sgpr_workgroup_id_z 0
		.amdhsa_system_sgpr_workgroup_info 0
		.amdhsa_system_vgpr_workitem_id 1
		.amdhsa_next_free_vgpr 10
		.amdhsa_next_free_sgpr 16
		.amdhsa_reserve_vcc 1
		.amdhsa_reserve_flat_scratch 0
		.amdhsa_float_round_mode_32 0
		.amdhsa_float_round_mode_16_64 0
		.amdhsa_float_denorm_mode_32 3
		.amdhsa_float_denorm_mode_16_64 3
		.amdhsa_dx10_clamp 1
		.amdhsa_ieee_mode 1
		.amdhsa_fp16_overflow 0
		.amdhsa_exception_fp_ieee_invalid_op 0
		.amdhsa_exception_fp_denorm_src 0
		.amdhsa_exception_fp_ieee_div_zero 0
		.amdhsa_exception_fp_ieee_overflow 0
		.amdhsa_exception_fp_ieee_underflow 0
		.amdhsa_exception_fp_ieee_inexact 0
		.amdhsa_exception_int_div_zero 0
	.end_amdhsa_kernel
	.text
.Lfunc_end2:
	.size	_Z22ldpc_vnp_kernel_normalPfS_PKcPK9h_element, .Lfunc_end2-_Z22ldpc_vnp_kernel_normalPfS_PKcPK9h_element
                                        ; -- End function
	.set _Z22ldpc_vnp_kernel_normalPfS_PKcPK9h_element.num_vgpr, 10
	.set _Z22ldpc_vnp_kernel_normalPfS_PKcPK9h_element.num_agpr, 0
	.set _Z22ldpc_vnp_kernel_normalPfS_PKcPK9h_element.numbered_sgpr, 16
	.set _Z22ldpc_vnp_kernel_normalPfS_PKcPK9h_element.num_named_barrier, 0
	.set _Z22ldpc_vnp_kernel_normalPfS_PKcPK9h_element.private_seg_size, 0
	.set _Z22ldpc_vnp_kernel_normalPfS_PKcPK9h_element.uses_vcc, 1
	.set _Z22ldpc_vnp_kernel_normalPfS_PKcPK9h_element.uses_flat_scratch, 0
	.set _Z22ldpc_vnp_kernel_normalPfS_PKcPK9h_element.has_dyn_sized_stack, 0
	.set _Z22ldpc_vnp_kernel_normalPfS_PKcPK9h_element.has_recursion, 0
	.set _Z22ldpc_vnp_kernel_normalPfS_PKcPK9h_element.has_indirect_call, 0
	.section	.AMDGPU.csdata,"",@progbits
; Kernel info:
; codeLenInByte = 324
; TotalNumSgprs: 20
; NumVgprs: 10
; ScratchSize: 0
; MemoryBound: 0
; FloatMode: 240
; IeeeMode: 1
; LDSByteSize: 0 bytes/workgroup (compile time only)
; SGPRBlocks: 2
; VGPRBlocks: 2
; NumSGPRsForWavesPerEU: 20
; NumVGPRsForWavesPerEU: 10
; Occupancy: 10
; WaveLimiterHint : 1
; COMPUTE_PGM_RSRC2:SCRATCH_EN: 0
; COMPUTE_PGM_RSRC2:USER_SGPR: 6
; COMPUTE_PGM_RSRC2:TRAP_HANDLER: 0
; COMPUTE_PGM_RSRC2:TGID_X_EN: 1
; COMPUTE_PGM_RSRC2:TGID_Y_EN: 1
; COMPUTE_PGM_RSRC2:TGID_Z_EN: 0
; COMPUTE_PGM_RSRC2:TIDIG_COMP_CNT: 1
	.text
	.protected	_Z25ldpc_vnp_kernel_last_iterPKfS0_PiPKcPK9h_element ; -- Begin function _Z25ldpc_vnp_kernel_last_iterPKfS0_PiPKcPK9h_element
	.globl	_Z25ldpc_vnp_kernel_last_iterPKfS0_PiPKcPK9h_element
	.p2align	8
	.type	_Z25ldpc_vnp_kernel_last_iterPKfS0_PiPKcPK9h_element,@function
_Z25ldpc_vnp_kernel_last_iterPKfS0_PiPKcPK9h_element: ; @_Z25ldpc_vnp_kernel_last_iterPKfS0_PiPKcPK9h_element
; %bb.0:
	v_lshl_add_u32 v5, s7, 1, v1
	s_movk_i32 s0, 0x900
	v_mul_lo_u32 v1, v5, s0
	s_load_dwordx8 s[8:15], s[4:5], 0x0
	s_mul_i32 s0, s6, 0x60
	s_ashr_i32 s7, s6, 31
	v_add3_u32 v1, s0, v0, v1
	v_ashrrev_i32_e32 v2, 31, v1
	v_lshlrev_b64 v[1:2], 2, v[1:2]
	s_waitcnt lgkmcnt(0)
	s_add_u32 s0, s14, s6
	s_addc_u32 s1, s15, s7
	v_mov_b32_e32 v4, 0
	v_mov_b32_e32 v3, s9
	global_load_sbyte v8, v4, s[0:1]
	v_add_co_u32_e32 v6, vcc, s8, v1
	v_addc_co_u32_e32 v7, vcc, v3, v2, vcc
	global_load_dword v3, v[6:7], off
	s_load_dwordx2 s[0:1], s[4:5], 0x20
	v_mov_b32_e32 v6, 1
	s_movk_i32 s2, 0x60
	s_waitcnt vmcnt(1)
	v_cmp_lt_i32_sdwa s[4:5], sext(v8), v6 src0_sel:WORD_0 src1_sel:DWORD
	s_and_b64 vcc, exec, s[4:5]
	v_readfirstlane_b32 s3, v8
	s_cbranch_vccnz .LBB3_3
; %bb.1:
	s_movk_i32 s4, 0x6c00
	v_mul_lo_u32 v5, v5, s4
	s_lshl_b64 s[4:5], s[6:7], 2
	s_waitcnt lgkmcnt(0)
	s_add_u32 s0, s0, s4
	s_addc_u32 s1, s1, s5
	s_mul_i32 s8, s6, 0x480
	s_add_u32 s0, s0, 2
	s_sext_i32_i16 s3, s3
	v_add_u32_e32 v5, s8, v5
	s_addc_u32 s1, s1, 0
	v_mov_b32_e32 v6, s11
.LBB3_2:                                ; =>This Inner Loop Header: Depth=1
	global_load_sbyte v7, v4, s[0:1] offset:-2
	global_load_sbyte v8, v4, s[0:1]
	s_add_i32 s3, s3, -1
	s_add_u32 s0, s0, 0x60
	s_addc_u32 s1, s1, 0
	s_cmp_eq_u32 s3, 0
	s_waitcnt vmcnt(1)
	v_mul_lo_u32 v7, v7, s2
	s_waitcnt vmcnt(0)
	v_sub_u32_e32 v8, v0, v8
	v_add_u32_e32 v9, 0x60, v8
	v_cmp_gt_i32_e32 vcc, 0, v8
	v_cndmask_b32_e32 v8, v8, v9, vcc
	v_add3_u32 v7, v5, v7, v8
	v_ashrrev_i32_e32 v8, 31, v7
	v_lshlrev_b64 v[7:8], 2, v[7:8]
	v_add_co_u32_e32 v7, vcc, s10, v7
	v_addc_co_u32_e32 v8, vcc, v6, v8, vcc
	global_load_dword v7, v[7:8], off
	s_waitcnt vmcnt(0)
	v_add_f32_e32 v3, v3, v7
	s_cbranch_scc0 .LBB3_2
.LBB3_3:
	s_waitcnt vmcnt(0)
	v_cmp_nlt_f32_e32 vcc, 0, v3
	v_cndmask_b32_e64 v3, 0, 1, vcc
	v_mov_b32_e32 v4, s13
	v_add_co_u32_e32 v0, vcc, s12, v1
	v_addc_co_u32_e32 v1, vcc, v4, v2, vcc
	global_store_dword v[0:1], v3, off
	s_endpgm
	.section	.rodata,"a",@progbits
	.p2align	6, 0x0
	.amdhsa_kernel _Z25ldpc_vnp_kernel_last_iterPKfS0_PiPKcPK9h_element
		.amdhsa_group_segment_fixed_size 0
		.amdhsa_private_segment_fixed_size 0
		.amdhsa_kernarg_size 40
		.amdhsa_user_sgpr_count 6
		.amdhsa_user_sgpr_private_segment_buffer 1
		.amdhsa_user_sgpr_dispatch_ptr 0
		.amdhsa_user_sgpr_queue_ptr 0
		.amdhsa_user_sgpr_kernarg_segment_ptr 1
		.amdhsa_user_sgpr_dispatch_id 0
		.amdhsa_user_sgpr_flat_scratch_init 0
		.amdhsa_user_sgpr_private_segment_size 0
		.amdhsa_uses_dynamic_stack 0
		.amdhsa_system_sgpr_private_segment_wavefront_offset 0
		.amdhsa_system_sgpr_workgroup_id_x 1
		.amdhsa_system_sgpr_workgroup_id_y 1
		.amdhsa_system_sgpr_workgroup_id_z 0
		.amdhsa_system_sgpr_workgroup_info 0
		.amdhsa_system_vgpr_workitem_id 1
		.amdhsa_next_free_vgpr 10
		.amdhsa_next_free_sgpr 16
		.amdhsa_reserve_vcc 1
		.amdhsa_reserve_flat_scratch 0
		.amdhsa_float_round_mode_32 0
		.amdhsa_float_round_mode_16_64 0
		.amdhsa_float_denorm_mode_32 3
		.amdhsa_float_denorm_mode_16_64 3
		.amdhsa_dx10_clamp 1
		.amdhsa_ieee_mode 1
		.amdhsa_fp16_overflow 0
		.amdhsa_exception_fp_ieee_invalid_op 0
		.amdhsa_exception_fp_denorm_src 0
		.amdhsa_exception_fp_ieee_div_zero 0
		.amdhsa_exception_fp_ieee_overflow 0
		.amdhsa_exception_fp_ieee_underflow 0
		.amdhsa_exception_fp_ieee_inexact 0
		.amdhsa_exception_int_div_zero 0
	.end_amdhsa_kernel
	.text
.Lfunc_end3:
	.size	_Z25ldpc_vnp_kernel_last_iterPKfS0_PiPKcPK9h_element, .Lfunc_end3-_Z25ldpc_vnp_kernel_last_iterPKfS0_PiPKcPK9h_element
                                        ; -- End function
	.set _Z25ldpc_vnp_kernel_last_iterPKfS0_PiPKcPK9h_element.num_vgpr, 10
	.set _Z25ldpc_vnp_kernel_last_iterPKfS0_PiPKcPK9h_element.num_agpr, 0
	.set _Z25ldpc_vnp_kernel_last_iterPKfS0_PiPKcPK9h_element.numbered_sgpr, 16
	.set _Z25ldpc_vnp_kernel_last_iterPKfS0_PiPKcPK9h_element.num_named_barrier, 0
	.set _Z25ldpc_vnp_kernel_last_iterPKfS0_PiPKcPK9h_element.private_seg_size, 0
	.set _Z25ldpc_vnp_kernel_last_iterPKfS0_PiPKcPK9h_element.uses_vcc, 1
	.set _Z25ldpc_vnp_kernel_last_iterPKfS0_PiPKcPK9h_element.uses_flat_scratch, 0
	.set _Z25ldpc_vnp_kernel_last_iterPKfS0_PiPKcPK9h_element.has_dyn_sized_stack, 0
	.set _Z25ldpc_vnp_kernel_last_iterPKfS0_PiPKcPK9h_element.has_recursion, 0
	.set _Z25ldpc_vnp_kernel_last_iterPKfS0_PiPKcPK9h_element.has_indirect_call, 0
	.section	.AMDGPU.csdata,"",@progbits
; Kernel info:
; codeLenInByte = 360
; TotalNumSgprs: 20
; NumVgprs: 10
; ScratchSize: 0
; MemoryBound: 0
; FloatMode: 240
; IeeeMode: 1
; LDSByteSize: 0 bytes/workgroup (compile time only)
; SGPRBlocks: 2
; VGPRBlocks: 2
; NumSGPRsForWavesPerEU: 20
; NumVGPRsForWavesPerEU: 10
; Occupancy: 10
; WaveLimiterHint : 1
; COMPUTE_PGM_RSRC2:SCRATCH_EN: 0
; COMPUTE_PGM_RSRC2:USER_SGPR: 6
; COMPUTE_PGM_RSRC2:TRAP_HANDLER: 0
; COMPUTE_PGM_RSRC2:TGID_X_EN: 1
; COMPUTE_PGM_RSRC2:TGID_Y_EN: 1
; COMPUTE_PGM_RSRC2:TGID_Z_EN: 0
; COMPUTE_PGM_RSRC2:TIDIG_COMP_CNT: 1
	.section	.AMDGPU.gpr_maximums,"",@progbits
	.set amdgpu.max_num_vgpr, 0
	.set amdgpu.max_num_agpr, 0
	.set amdgpu.max_num_sgpr, 0
	.section	.AMDGPU.csdata,"",@progbits
	.type	__hip_cuid_7201ddaa0fb382d9,@object ; @__hip_cuid_7201ddaa0fb382d9
	.section	.bss,"aw",@nobits
	.globl	__hip_cuid_7201ddaa0fb382d9
__hip_cuid_7201ddaa0fb382d9:
	.byte	0                               ; 0x0
	.size	__hip_cuid_7201ddaa0fb382d9, 1

	.ident	"AMD clang version 22.0.0git (https://github.com/RadeonOpenCompute/llvm-project roc-7.2.4 26084 f58b06dce1f9c15707c5f808fd002e18c2accf7e)"
	.section	".note.GNU-stack","",@progbits
	.addrsig
	.addrsig_sym __hip_cuid_7201ddaa0fb382d9
	.amdgpu_metadata
---
amdhsa.kernels:
  - .args:
      - .address_space:  global
        .offset:         0
        .size:           8
        .value_kind:     global_buffer
      - .address_space:  global
        .offset:         8
        .size:           8
        .value_kind:     global_buffer
      - .address_space:  global
        .offset:         16
        .size:           8
        .value_kind:     global_buffer
      - .address_space:  global
        .offset:         24
        .size:           8
        .value_kind:     global_buffer
      - .address_space:  global
        .offset:         32
        .size:           8
        .value_kind:     global_buffer
    .group_segment_fixed_size: 0
    .kernarg_segment_align: 8
    .kernarg_segment_size: 40
    .language:       OpenCL C
    .language_version:
      - 2
      - 0
    .max_flat_workgroup_size: 1024
    .name:           _Z24ldpc_cnp_kernel_1st_iterPKfPfS1_PKcPK9h_element
    .private_segment_fixed_size: 0
    .sgpr_count:     26
    .sgpr_spill_count: 0
    .symbol:         _Z24ldpc_cnp_kernel_1st_iterPKfPfS1_PKcPK9h_element.kd
    .uniform_work_group_size: 1
    .uses_dynamic_stack: false
    .vgpr_count:     14
    .vgpr_spill_count: 0
    .wavefront_size: 64
  - .args:
      - .address_space:  global
        .offset:         0
        .size:           8
        .value_kind:     global_buffer
      - .address_space:  global
        .offset:         8
        .size:           8
        .value_kind:     global_buffer
      - .address_space:  global
        .offset:         16
        .size:           8
        .value_kind:     global_buffer
      - .address_space:  global
        .offset:         24
        .size:           8
        .value_kind:     global_buffer
      - .address_space:  global
        .offset:         32
        .size:           8
        .value_kind:     global_buffer
      - .offset:         40
        .size:           4
        .value_kind:     hidden_block_count_x
      - .offset:         44
        .size:           4
        .value_kind:     hidden_block_count_y
      - .offset:         48
        .size:           4
        .value_kind:     hidden_block_count_z
      - .offset:         52
        .size:           2
        .value_kind:     hidden_group_size_x
      - .offset:         54
        .size:           2
        .value_kind:     hidden_group_size_y
      - .offset:         56
        .size:           2
        .value_kind:     hidden_group_size_z
      - .offset:         58
        .size:           2
        .value_kind:     hidden_remainder_x
      - .offset:         60
        .size:           2
        .value_kind:     hidden_remainder_y
      - .offset:         62
        .size:           2
        .value_kind:     hidden_remainder_z
      - .offset:         80
        .size:           8
        .value_kind:     hidden_global_offset_x
      - .offset:         88
        .size:           8
        .value_kind:     hidden_global_offset_y
      - .offset:         96
        .size:           8
        .value_kind:     hidden_global_offset_z
      - .offset:         104
        .size:           2
        .value_kind:     hidden_grid_dims
      - .offset:         160
        .size:           4
        .value_kind:     hidden_dynamic_lds_size
    .group_segment_fixed_size: 0
    .kernarg_segment_align: 8
    .kernarg_segment_size: 296
    .language:       OpenCL C
    .language_version:
      - 2
      - 0
    .max_flat_workgroup_size: 1024
    .name:           _Z15ldpc_cnp_kernelPKfPfS1_PKcPK9h_element
    .private_segment_fixed_size: 0
    .sgpr_count:     30
    .sgpr_spill_count: 0
    .symbol:         _Z15ldpc_cnp_kernelPKfPfS1_PKcPK9h_element.kd
    .uniform_work_group_size: 1
    .uses_dynamic_stack: false
    .vgpr_count:     19
    .vgpr_spill_count: 0
    .wavefront_size: 64
  - .args:
      - .address_space:  global
        .offset:         0
        .size:           8
        .value_kind:     global_buffer
      - .address_space:  global
        .offset:         8
        .size:           8
        .value_kind:     global_buffer
      - .address_space:  global
        .offset:         16
        .size:           8
        .value_kind:     global_buffer
      - .address_space:  global
        .offset:         24
        .size:           8
        .value_kind:     global_buffer
    .group_segment_fixed_size: 0
    .kernarg_segment_align: 8
    .kernarg_segment_size: 32
    .language:       OpenCL C
    .language_version:
      - 2
      - 0
    .max_flat_workgroup_size: 1024
    .name:           _Z22ldpc_vnp_kernel_normalPfS_PKcPK9h_element
    .private_segment_fixed_size: 0
    .sgpr_count:     20
    .sgpr_spill_count: 0
    .symbol:         _Z22ldpc_vnp_kernel_normalPfS_PKcPK9h_element.kd
    .uniform_work_group_size: 1
    .uses_dynamic_stack: false
    .vgpr_count:     10
    .vgpr_spill_count: 0
    .wavefront_size: 64
  - .args:
      - .address_space:  global
        .offset:         0
        .size:           8
        .value_kind:     global_buffer
      - .address_space:  global
        .offset:         8
        .size:           8
        .value_kind:     global_buffer
      - .address_space:  global
        .offset:         16
        .size:           8
        .value_kind:     global_buffer
      - .address_space:  global
        .offset:         24
        .size:           8
        .value_kind:     global_buffer
      - .address_space:  global
        .offset:         32
        .size:           8
        .value_kind:     global_buffer
    .group_segment_fixed_size: 0
    .kernarg_segment_align: 8
    .kernarg_segment_size: 40
    .language:       OpenCL C
    .language_version:
      - 2
      - 0
    .max_flat_workgroup_size: 1024
    .name:           _Z25ldpc_vnp_kernel_last_iterPKfS0_PiPKcPK9h_element
    .private_segment_fixed_size: 0
    .sgpr_count:     20
    .sgpr_spill_count: 0
    .symbol:         _Z25ldpc_vnp_kernel_last_iterPKfS0_PiPKcPK9h_element.kd
    .uniform_work_group_size: 1
    .uses_dynamic_stack: false
    .vgpr_count:     10
    .vgpr_spill_count: 0
    .wavefront_size: 64
amdhsa.target:   amdgcn-amd-amdhsa--gfx906
amdhsa.version:
  - 1
  - 2
...

	.end_amdgpu_metadata
